;; amdgpu-corpus repo=ROCm/rocFFT kind=compiled arch=gfx1030 opt=O3
	.text
	.amdgcn_target "amdgcn-amd-amdhsa--gfx1030"
	.amdhsa_code_object_version 6
	.protected	fft_rtc_fwd_len112_factors_16_7_wgs_256_tpt_16_half_op_CI_CI_unitstride_sbrr_dirReg ; -- Begin function fft_rtc_fwd_len112_factors_16_7_wgs_256_tpt_16_half_op_CI_CI_unitstride_sbrr_dirReg
	.globl	fft_rtc_fwd_len112_factors_16_7_wgs_256_tpt_16_half_op_CI_CI_unitstride_sbrr_dirReg
	.p2align	8
	.type	fft_rtc_fwd_len112_factors_16_7_wgs_256_tpt_16_half_op_CI_CI_unitstride_sbrr_dirReg,@function
fft_rtc_fwd_len112_factors_16_7_wgs_256_tpt_16_half_op_CI_CI_unitstride_sbrr_dirReg: ; @fft_rtc_fwd_len112_factors_16_7_wgs_256_tpt_16_half_op_CI_CI_unitstride_sbrr_dirReg
; %bb.0:
	s_clause 0x2
	s_load_dwordx4 s[12:15], s[4:5], 0x0
	s_load_dwordx4 s[8:11], s[4:5], 0x58
	;; [unrolled: 1-line block ×3, first 2 shown]
	v_lshrrev_b32_e32 v12, 4, v0
	v_mov_b32_e32 v8, 0
	v_mov_b32_e32 v6, 0
	;; [unrolled: 1-line block ×3, first 2 shown]
	v_lshl_or_b32 v10, s6, 4, v12
	v_mov_b32_e32 v11, v8
	s_waitcnt lgkmcnt(0)
	v_cmp_lt_u64_e64 s0, s[14:15], 2
	s_and_b32 vcc_lo, exec_lo, s0
	s_cbranch_vccnz .LBB0_8
; %bb.1:
	s_load_dwordx2 s[0:1], s[4:5], 0x10
	v_mov_b32_e32 v6, 0
	v_mov_b32_e32 v7, 0
	s_add_u32 s2, s18, 8
	s_addc_u32 s3, s19, 0
	v_mov_b32_e32 v1, v6
	s_add_u32 s6, s16, 8
	v_mov_b32_e32 v2, v7
	s_addc_u32 s7, s17, 0
	s_mov_b64 s[22:23], 1
	s_waitcnt lgkmcnt(0)
	s_add_u32 s20, s0, 8
	s_addc_u32 s21, s1, 0
.LBB0_2:                                ; =>This Inner Loop Header: Depth=1
	s_load_dwordx2 s[24:25], s[20:21], 0x0
                                        ; implicit-def: $vgpr3_vgpr4
	s_mov_b32 s0, exec_lo
	s_waitcnt lgkmcnt(0)
	v_or_b32_e32 v9, s25, v11
	v_cmpx_ne_u64_e32 0, v[8:9]
	s_xor_b32 s1, exec_lo, s0
	s_cbranch_execz .LBB0_4
; %bb.3:                                ;   in Loop: Header=BB0_2 Depth=1
	v_cvt_f32_u32_e32 v3, s24
	v_cvt_f32_u32_e32 v4, s25
	s_sub_u32 s0, 0, s24
	s_subb_u32 s26, 0, s25
	v_fmac_f32_e32 v3, 0x4f800000, v4
	v_rcp_f32_e32 v3, v3
	v_mul_f32_e32 v3, 0x5f7ffffc, v3
	v_mul_f32_e32 v4, 0x2f800000, v3
	v_trunc_f32_e32 v4, v4
	v_fmac_f32_e32 v3, 0xcf800000, v4
	v_cvt_u32_f32_e32 v4, v4
	v_cvt_u32_f32_e32 v3, v3
	v_mul_lo_u32 v5, s0, v4
	v_mul_hi_u32 v9, s0, v3
	v_mul_lo_u32 v13, s26, v3
	v_add_nc_u32_e32 v5, v9, v5
	v_mul_lo_u32 v9, s0, v3
	v_add_nc_u32_e32 v5, v5, v13
	v_mul_hi_u32 v13, v3, v9
	v_mul_lo_u32 v14, v3, v5
	v_mul_hi_u32 v15, v3, v5
	v_mul_hi_u32 v16, v4, v9
	v_mul_lo_u32 v9, v4, v9
	v_mul_hi_u32 v17, v4, v5
	v_mul_lo_u32 v5, v4, v5
	v_add_co_u32 v13, vcc_lo, v13, v14
	v_add_co_ci_u32_e32 v14, vcc_lo, 0, v15, vcc_lo
	v_add_co_u32 v9, vcc_lo, v13, v9
	v_add_co_ci_u32_e32 v9, vcc_lo, v14, v16, vcc_lo
	v_add_co_ci_u32_e32 v13, vcc_lo, 0, v17, vcc_lo
	v_add_co_u32 v5, vcc_lo, v9, v5
	v_add_co_ci_u32_e32 v9, vcc_lo, 0, v13, vcc_lo
	v_add_co_u32 v3, vcc_lo, v3, v5
	v_add_co_ci_u32_e32 v4, vcc_lo, v4, v9, vcc_lo
	v_mul_hi_u32 v5, s0, v3
	v_mul_lo_u32 v13, s26, v3
	v_mul_lo_u32 v9, s0, v4
	v_add_nc_u32_e32 v5, v5, v9
	v_mul_lo_u32 v9, s0, v3
	v_add_nc_u32_e32 v5, v5, v13
	v_mul_hi_u32 v13, v3, v9
	v_mul_lo_u32 v14, v3, v5
	v_mul_hi_u32 v15, v3, v5
	v_mul_hi_u32 v16, v4, v9
	v_mul_lo_u32 v9, v4, v9
	v_mul_hi_u32 v17, v4, v5
	v_mul_lo_u32 v5, v4, v5
	v_add_co_u32 v13, vcc_lo, v13, v14
	v_add_co_ci_u32_e32 v14, vcc_lo, 0, v15, vcc_lo
	v_add_co_u32 v9, vcc_lo, v13, v9
	v_add_co_ci_u32_e32 v9, vcc_lo, v14, v16, vcc_lo
	v_add_co_ci_u32_e32 v13, vcc_lo, 0, v17, vcc_lo
	v_add_co_u32 v5, vcc_lo, v9, v5
	v_add_co_ci_u32_e32 v9, vcc_lo, 0, v13, vcc_lo
	v_add_co_u32 v5, vcc_lo, v3, v5
	v_add_co_ci_u32_e32 v9, vcc_lo, v4, v9, vcc_lo
	v_mul_hi_u32 v17, v10, v5
	v_mad_u64_u32 v[13:14], null, v11, v5, 0
	v_mad_u64_u32 v[3:4], null, v10, v9, 0
	;; [unrolled: 1-line block ×3, first 2 shown]
	v_add_co_u32 v3, vcc_lo, v17, v3
	v_add_co_ci_u32_e32 v4, vcc_lo, 0, v4, vcc_lo
	v_add_co_u32 v3, vcc_lo, v3, v13
	v_add_co_ci_u32_e32 v3, vcc_lo, v4, v14, vcc_lo
	v_add_co_ci_u32_e32 v4, vcc_lo, 0, v16, vcc_lo
	v_add_co_u32 v5, vcc_lo, v3, v15
	v_add_co_ci_u32_e32 v9, vcc_lo, 0, v4, vcc_lo
	v_mul_lo_u32 v13, s25, v5
	v_mad_u64_u32 v[3:4], null, s24, v5, 0
	v_mul_lo_u32 v14, s24, v9
	v_sub_co_u32 v3, vcc_lo, v10, v3
	v_add3_u32 v4, v4, v14, v13
	v_sub_nc_u32_e32 v13, v11, v4
	v_subrev_co_ci_u32_e64 v13, s0, s25, v13, vcc_lo
	v_add_co_u32 v14, s0, v5, 2
	v_add_co_ci_u32_e64 v15, s0, 0, v9, s0
	v_sub_co_u32 v16, s0, v3, s24
	v_sub_co_ci_u32_e32 v4, vcc_lo, v11, v4, vcc_lo
	v_subrev_co_ci_u32_e64 v13, s0, 0, v13, s0
	v_cmp_le_u32_e32 vcc_lo, s24, v16
	v_cmp_eq_u32_e64 s0, s25, v4
	v_cndmask_b32_e64 v16, 0, -1, vcc_lo
	v_cmp_le_u32_e32 vcc_lo, s25, v13
	v_cndmask_b32_e64 v17, 0, -1, vcc_lo
	v_cmp_le_u32_e32 vcc_lo, s24, v3
	;; [unrolled: 2-line block ×3, first 2 shown]
	v_cndmask_b32_e64 v18, 0, -1, vcc_lo
	v_cmp_eq_u32_e32 vcc_lo, s25, v13
	v_cndmask_b32_e64 v3, v18, v3, s0
	v_cndmask_b32_e32 v13, v17, v16, vcc_lo
	v_add_co_u32 v16, vcc_lo, v5, 1
	v_add_co_ci_u32_e32 v17, vcc_lo, 0, v9, vcc_lo
	v_cmp_ne_u32_e32 vcc_lo, 0, v13
	v_cndmask_b32_e32 v4, v17, v15, vcc_lo
	v_cndmask_b32_e32 v13, v16, v14, vcc_lo
	v_cmp_ne_u32_e32 vcc_lo, 0, v3
	v_cndmask_b32_e32 v4, v9, v4, vcc_lo
	v_cndmask_b32_e32 v3, v5, v13, vcc_lo
.LBB0_4:                                ;   in Loop: Header=BB0_2 Depth=1
	s_andn2_saveexec_b32 s0, s1
	s_cbranch_execz .LBB0_6
; %bb.5:                                ;   in Loop: Header=BB0_2 Depth=1
	v_cvt_f32_u32_e32 v3, s24
	s_sub_i32 s1, 0, s24
	v_rcp_iflag_f32_e32 v3, v3
	v_mul_f32_e32 v3, 0x4f7ffffe, v3
	v_cvt_u32_f32_e32 v3, v3
	v_mul_lo_u32 v4, s1, v3
	v_mul_hi_u32 v4, v3, v4
	v_add_nc_u32_e32 v3, v3, v4
	v_mul_hi_u32 v3, v10, v3
	v_mul_lo_u32 v4, v3, s24
	v_add_nc_u32_e32 v5, 1, v3
	v_sub_nc_u32_e32 v4, v10, v4
	v_subrev_nc_u32_e32 v9, s24, v4
	v_cmp_le_u32_e32 vcc_lo, s24, v4
	v_cndmask_b32_e32 v4, v4, v9, vcc_lo
	v_cndmask_b32_e32 v3, v3, v5, vcc_lo
	v_cmp_le_u32_e32 vcc_lo, s24, v4
	v_add_nc_u32_e32 v5, 1, v3
	v_mov_b32_e32 v4, v8
	v_cndmask_b32_e32 v3, v3, v5, vcc_lo
.LBB0_6:                                ;   in Loop: Header=BB0_2 Depth=1
	s_or_b32 exec_lo, exec_lo, s0
	v_mul_lo_u32 v5, v4, s24
	v_mul_lo_u32 v9, v3, s25
	s_load_dwordx2 s[0:1], s[6:7], 0x0
	v_mad_u64_u32 v[13:14], null, v3, s24, 0
	s_load_dwordx2 s[24:25], s[2:3], 0x0
	s_add_u32 s22, s22, 1
	s_addc_u32 s23, s23, 0
	s_add_u32 s2, s2, 8
	s_addc_u32 s3, s3, 0
	s_add_u32 s6, s6, 8
	v_add3_u32 v5, v14, v9, v5
	v_sub_co_u32 v9, vcc_lo, v10, v13
	s_addc_u32 s7, s7, 0
	s_add_u32 s20, s20, 8
	v_sub_co_ci_u32_e32 v5, vcc_lo, v11, v5, vcc_lo
	s_addc_u32 s21, s21, 0
	s_waitcnt lgkmcnt(0)
	v_mul_lo_u32 v10, s0, v5
	v_mul_lo_u32 v11, s1, v9
	v_mad_u64_u32 v[6:7], null, s0, v9, v[6:7]
	v_mul_lo_u32 v5, s24, v5
	v_mul_lo_u32 v13, s25, v9
	v_mad_u64_u32 v[1:2], null, s24, v9, v[1:2]
	v_cmp_ge_u64_e64 s0, s[22:23], s[14:15]
	v_add3_u32 v7, v11, v7, v10
	v_add3_u32 v2, v13, v2, v5
	s_and_b32 vcc_lo, exec_lo, s0
	s_cbranch_vccnz .LBB0_9
; %bb.7:                                ;   in Loop: Header=BB0_2 Depth=1
	v_mov_b32_e32 v11, v4
	v_mov_b32_e32 v10, v3
	s_branch .LBB0_2
.LBB0_8:
	v_mov_b32_e32 v1, v6
	v_mov_b32_e32 v3, v10
	;; [unrolled: 1-line block ×4, first 2 shown]
.LBB0_9:
	s_load_dwordx2 s[0:1], s[4:5], 0x28
	s_lshl_b64 s[4:5], s[14:15], 3
	v_and_b32_e32 v5, 15, v0
	s_add_u32 s2, s18, s4
	s_addc_u32 s3, s19, s5
	s_waitcnt lgkmcnt(0)
	v_cmp_gt_u64_e32 vcc_lo, s[0:1], v[3:4]
	v_cmp_le_u64_e64 s0, s[0:1], v[3:4]
	s_and_saveexec_b32 s1, s0
	s_xor_b32 s0, exec_lo, s1
; %bb.10:
	v_and_b32_e32 v5, 15, v0
                                        ; implicit-def: $vgpr6_vgpr7
; %bb.11:
	s_or_saveexec_b32 s1, s0
	v_mul_u32_u24_e32 v0, 0x70, v12
	v_lshlrev_b32_e32 v22, 2, v0
	s_xor_b32 exec_lo, exec_lo, s1
	s_cbranch_execz .LBB0_13
; %bb.12:
	s_add_u32 s4, s16, s4
	s_addc_u32 s5, s17, s5
	v_lshlrev_b64 v[6:7], 2, v[6:7]
	s_load_dwordx2 s[4:5], s[4:5], 0x0
	v_or_b32_e32 v0, v0, v5
	v_lshl_add_u32 v0, v0, 2, 0
	s_waitcnt lgkmcnt(0)
	v_mul_lo_u32 v10, s5, v3
	v_mul_lo_u32 v11, s4, v4
	v_mad_u64_u32 v[8:9], null, s4, v3, 0
	v_add3_u32 v9, v9, v11, v10
	v_lshlrev_b32_e32 v10, 2, v5
	v_lshlrev_b64 v[8:9], 2, v[8:9]
	v_add_co_u32 v8, s0, s8, v8
	v_add_co_ci_u32_e64 v9, s0, s9, v9, s0
	v_add_co_u32 v6, s0, v8, v6
	v_add_co_ci_u32_e64 v7, s0, v9, v7, s0
	;; [unrolled: 2-line block ×3, first 2 shown]
	s_clause 0x6
	global_load_dword v8, v[6:7], off
	global_load_dword v9, v[6:7], off offset:64
	global_load_dword v11, v[6:7], off offset:128
	;; [unrolled: 1-line block ×6, first 2 shown]
	v_add3_u32 v7, 0, v22, v10
	s_waitcnt vmcnt(6)
	ds_write_b32 v0, v8
	s_waitcnt vmcnt(4)
	ds_write2_b32 v7, v9, v11 offset0:16 offset1:32
	s_waitcnt vmcnt(2)
	ds_write2_b32 v7, v12, v13 offset0:48 offset1:64
	;; [unrolled: 2-line block ×3, first 2 shown]
.LBB0_13:
	s_or_b32 exec_lo, exec_lo, s1
	v_lshlrev_b32_e32 v6, 2, v5
	v_add_nc_u32_e32 v0, 0, v22
	s_waitcnt lgkmcnt(0)
	s_barrier
	buffer_gl0_inv
	v_add_nc_u32_e32 v23, 0, v6
	v_add_nc_u32_e32 v21, v0, v6
	s_mov_b32 s1, exec_lo
	v_add_nc_u32_e32 v20, v23, v22
	ds_read2_b32 v[10:11], v20 offset0:7 offset1:14
	ds_read2_b32 v[6:7], v20 offset0:21 offset1:28
	;; [unrolled: 1-line block ×7, first 2 shown]
	ds_read_b32 v24, v21
	ds_read_b32 v25, v20 offset:420
	s_waitcnt lgkmcnt(0)
	s_barrier
	buffer_gl0_inv
	v_cmpx_gt_u32_e32 7, v5
	s_cbranch_execz .LBB0_15
; %bb.14:
	v_pk_add_f16 v9, v24, v9 neg_lo:[0,1] neg_hi:[0,1]
	v_pk_add_f16 v15, v7, v15 neg_lo:[0,1] neg_hi:[0,1]
	;; [unrolled: 1-line block ×8, first 2 shown]
	v_sub_f16_sdwa v26, v9, v15 dst_sel:DWORD dst_unused:UNUSED_PAD src0_sel:DWORD src1_sel:WORD_1
	v_sub_f16_sdwa v27, v17, v19 dst_sel:DWORD dst_unused:UNUSED_PAD src0_sel:DWORD src1_sel:WORD_1
	v_lshrrev_b32_e32 v28, 16, v17
	v_sub_f16_sdwa v29, v16, v18 dst_sel:DWORD dst_unused:UNUSED_PAD src0_sel:DWORD src1_sel:WORD_1
	v_sub_f16_sdwa v30, v14, v25 dst_sel:DWORD dst_unused:UNUSED_PAD src0_sel:DWORD src1_sel:WORD_1
	v_lshrrev_b32_e32 v31, 16, v14
	v_lshrrev_b32_e32 v32, 16, v16
	v_fmamk_f16 v33, v27, 0x39a8, v26
	v_add_f16_e32 v34, v28, v19
	v_fmamk_f16 v35, v30, 0x39a8, v29
	v_add_f16_e32 v36, v31, v25
	v_add_f16_e32 v37, v32, v18
	v_lshrrev_b32_e32 v41, 16, v9
	v_fmac_f16_e32 v33, 0xb9a8, v34
	v_fma_f16 v46, v17, 2.0, -v27
	v_fmac_f16_e32 v35, 0xb9a8, v36
	v_fmamk_f16 v38, v36, 0x39a8, v37
	v_add_f16_e32 v44, v41, v15
	v_fma_f16 v39, v26, 2.0, -v33
	v_fma_f16 v26, v9, 2.0, -v26
	;; [unrolled: 1-line block ×3, first 2 shown]
	v_fmac_f16_e32 v38, 0x39a8, v30
	v_fmamk_f16 v45, v34, 0x39a8, v44
	v_fma_f16 v29, v16, 2.0, -v29
	v_fma_f16 v30, v14, 2.0, -v30
	;; [unrolled: 1-line block ×6, first 2 shown]
	v_fmac_f16_e32 v45, 0x39a8, v27
	v_fmamk_f16 v27, v46, 0xb9a8, v26
	v_fmamk_f16 v36, v30, 0xb9a8, v29
	;; [unrolled: 1-line block ×3, first 2 shown]
	v_fma_f16 v43, v37, 2.0, -v38
	v_fmamk_f16 v37, v31, 0xb9a8, v32
	v_fmamk_f16 v41, v28, 0xb9a8, v34
	v_fmac_f16_e32 v27, 0xb9a8, v28
	v_fmac_f16_e32 v36, 0xb9a8, v31
	v_pk_fma_f16 v9, v24, 2.0, v9 op_sel_hi:[1,0,1] neg_lo:[0,0,1] neg_hi:[0,0,1]
	v_pk_fma_f16 v7, v7, 2.0, v15 op_sel_hi:[1,0,1] neg_lo:[0,0,1] neg_hi:[0,0,1]
	;; [unrolled: 1-line block ×6, first 2 shown]
	v_fmac_f16_e32 v42, 0xbb64, v43
	v_fma_f16 v44, v44, 2.0, -v45
	v_fmac_f16_e32 v37, 0x39a8, v30
	v_fmac_f16_e32 v41, 0x39a8, v46
	v_fmamk_f16 v28, v35, 0x3b64, v33
	v_fma_f16 v26, v26, 2.0, -v27
	v_fma_f16 v29, v29, 2.0, -v36
	v_pk_fma_f16 v6, v6, 2.0, v14 op_sel_hi:[1,0,1] neg_lo:[0,0,1] neg_hi:[0,0,1]
	v_pk_fma_f16 v8, v8, 2.0, v25 op_sel_hi:[1,0,1] neg_lo:[0,0,1] neg_hi:[0,0,1]
	v_pk_add_f16 v7, v9, v7 neg_lo:[0,1] neg_hi:[0,1]
	v_pk_add_f16 v12, v10, v12 neg_lo:[0,1] neg_hi:[0,1]
	v_pk_add_f16 v13, v11, v13 neg_lo:[0,1] neg_hi:[0,1]
	v_fmamk_f16 v30, v43, 0xb61f, v44
	v_fmamk_f16 v43, v38, 0x3b64, v45
	v_fmac_f16_e32 v28, 0xb61f, v38
	v_fma_f16 v38, v39, 2.0, -v42
	v_fmamk_f16 v39, v29, 0xbb64, v26
	v_fma_f16 v32, v32, 2.0, -v37
	v_fma_f16 v14, v34, 2.0, -v41
	v_pk_add_f16 v8, v6, v8 neg_lo:[0,1] neg_hi:[0,1]
	v_lshrrev_b32_e32 v19, 16, v12
	v_lshrrev_b32_e32 v24, 16, v7
	v_sub_f16_sdwa v17, v7, v13 dst_sel:DWORD dst_unused:UNUSED_PAD src0_sel:DWORD src1_sel:WORD_1
	v_mul_u32_u24_e32 v25, 60, v5
	v_fmamk_f16 v31, v36, 0x361f, v27
	v_fmac_f16_e32 v39, 0xb61f, v32
	v_fmamk_f16 v16, v32, 0xbb64, v14
	v_sub_f16_sdwa v18, v12, v8 dst_sel:DWORD dst_unused:UNUSED_PAD src0_sel:DWORD src1_sel:WORD_1
	v_add_f16_e32 v32, v19, v8
	v_add_f16_e32 v34, v24, v13
	v_add3_u32 v22, v23, v25, v22
	v_fma_f16 v25, v7, 2.0, -v17
	v_pk_fma_f16 v7, v9, 2.0, v7 op_sel_hi:[1,0,1] neg_lo:[0,0,1] neg_hi:[0,0,1]
	v_pk_fma_f16 v9, v11, 2.0, v13 op_sel_hi:[1,0,1] neg_lo:[0,0,1] neg_hi:[0,0,1]
	v_fmamk_f16 v46, v37, 0x361f, v41
	v_fmac_f16_e32 v31, 0xbb64, v37
	v_fma_f16 v37, v12, 2.0, -v18
	v_pk_fma_f16 v10, v10, 2.0, v12 op_sel_hi:[1,0,1] neg_lo:[0,0,1] neg_hi:[0,0,1]
	v_pk_fma_f16 v6, v6, 2.0, v8 op_sel_hi:[1,0,1] neg_lo:[0,0,1] neg_hi:[0,0,1]
	v_fma_f16 v8, v19, 2.0, -v32
	v_fma_f16 v11, v24, 2.0, -v34
	v_fmamk_f16 v23, v32, 0x39a8, v34
	v_pk_add_f16 v9, v7, v9 neg_lo:[0,1] neg_hi:[0,1]
	v_pk_add_f16 v6, v10, v6 neg_lo:[0,1] neg_hi:[0,1]
	v_fmamk_f16 v12, v37, 0xb9a8, v25
	v_fmamk_f16 v13, v8, 0xb9a8, v11
	v_fmac_f16_e32 v16, 0x361f, v29
	v_fmamk_f16 v29, v18, 0x39a8, v17
	v_fmac_f16_e32 v23, 0x39a8, v18
	v_lshrrev_b32_e32 v18, 16, v9
	v_pk_fma_f16 v7, v7, 2.0, v9 op_sel_hi:[1,0,1] neg_lo:[0,0,1] neg_hi:[0,0,1]
	v_pk_fma_f16 v10, v10, 2.0, v6 op_sel_hi:[1,0,1] neg_lo:[0,0,1] neg_hi:[0,0,1]
	v_fmac_f16_e32 v12, 0xb9a8, v8
	v_fmac_f16_e32 v13, 0x39a8, v37
	;; [unrolled: 1-line block ×4, first 2 shown]
	v_sub_f16_sdwa v8, v9, v6 dst_sel:DWORD dst_unused:UNUSED_PAD src0_sel:DWORD src1_sel:WORD_1
	v_add_f16_e32 v6, v18, v6
	v_fmac_f16_e32 v43, 0x361f, v35
	v_fma_f16 v26, v26, 2.0, -v39
	v_fma_f16 v14, v14, 2.0, -v16
	v_fmac_f16_e32 v29, 0xb9a8, v32
	v_pk_add_f16 v10, v7, v10 neg_lo:[0,1] neg_hi:[0,1]
	v_fma_f16 v19, v25, 2.0, -v12
	v_fma_f16 v11, v11, 2.0, -v13
	;; [unrolled: 1-line block ×9, first 2 shown]
	v_pk_fma_f16 v7, v7, 2.0, v10 op_sel_hi:[1,0,1] neg_lo:[0,0,1] neg_hi:[0,0,1]
	v_pack_b32_f16 v14, v26, v14
	v_pack_b32_f16 v11, v19, v11
	v_fma_f16 v17, v17, 2.0, -v29
	v_fma_f16 v19, v34, 2.0, -v23
	v_pack_b32_f16 v15, v38, v15
	v_pack_b32_f16 v9, v9, v18
	;; [unrolled: 1-line block ×3, first 2 shown]
	ds_write2_b32 v22, v7, v14 offset1:1
	ds_write2_b32 v22, v11, v15 offset0:2 offset1:3
	ds_write2_b32 v22, v9, v18 offset0:4 offset1:5
	v_pack_b32_f16 v7, v33, v35
	v_pack_b32_f16 v9, v17, v19
	;; [unrolled: 1-line block ×9, first 2 shown]
	ds_write2_b32 v22, v9, v7 offset0:6 offset1:7
	ds_write2_b32 v22, v10, v11 offset0:8 offset1:9
	;; [unrolled: 1-line block ×5, first 2 shown]
.LBB0_15:
	s_or_b32 exec_lo, exec_lo, s1
	v_mul_u32_u24_e32 v6, 6, v5
	s_load_dwordx2 s[0:1], s[2:3], 0x0
	s_waitcnt lgkmcnt(0)
	s_barrier
	buffer_gl0_inv
	v_lshlrev_b32_e32 v10, 2, v6
	s_clause 0x1
	global_load_dwordx4 v[6:9], v10, s[12:13]
	global_load_dwordx2 v[10:11], v10, s[12:13] offset:16
	ds_read2_b32 v[12:13], v20 offset0:16 offset1:32
	ds_read2_b32 v[14:15], v20 offset0:48 offset1:64
	;; [unrolled: 1-line block ×3, first 2 shown]
	ds_read_b32 v18, v21
	s_waitcnt vmcnt(0) lgkmcnt(0)
	s_barrier
	buffer_gl0_inv
	v_lshrrev_b32_e32 v19, 16, v12
	v_lshrrev_b32_e32 v21, 16, v13
	;; [unrolled: 1-line block ×6, first 2 shown]
	v_mul_f16_sdwa v26, v6, v19 dst_sel:DWORD dst_unused:UNUSED_PAD src0_sel:WORD_1 src1_sel:DWORD
	v_mul_f16_sdwa v27, v6, v12 dst_sel:DWORD dst_unused:UNUSED_PAD src0_sel:WORD_1 src1_sel:DWORD
	;; [unrolled: 1-line block ×12, first 2 shown]
	v_fma_f16 v12, v6, v12, -v26
	v_fmac_f16_e32 v27, v6, v19
	v_fma_f16 v6, v7, v13, -v28
	v_fmac_f16_e32 v29, v7, v21
	;; [unrolled: 2-line block ×3, first 2 shown]
	v_fma_f16 v8, v9, v15, -v32
	v_fma_f16 v13, v11, v17, -v36
	v_fmac_f16_e32 v37, v11, v25
	v_fmac_f16_e32 v33, v9, v23
	v_fma_f16 v9, v10, v16, -v34
	v_fmac_f16_e32 v35, v10, v24
	v_add_f16_e32 v10, v12, v13
	v_add_f16_e32 v11, v27, v37
	v_sub_f16_e32 v12, v12, v13
	v_add_f16_e32 v14, v6, v9
	v_add_f16_e32 v15, v29, v35
	v_sub_f16_e32 v13, v27, v37
	v_sub_f16_e32 v6, v6, v9
	;; [unrolled: 1-line block ×3, first 2 shown]
	v_add_f16_e32 v16, v7, v8
	v_add_f16_e32 v17, v31, v33
	v_sub_f16_e32 v7, v8, v7
	v_sub_f16_e32 v8, v33, v31
	v_add_f16_e32 v19, v14, v10
	v_add_f16_e32 v21, v15, v11
	v_sub_f16_e32 v22, v14, v10
	v_sub_f16_e32 v23, v15, v11
	;; [unrolled: 1-line block ×6, first 2 shown]
	v_add_f16_e32 v24, v7, v6
	v_add_f16_e32 v25, v8, v9
	v_sub_f16_e32 v26, v7, v6
	v_sub_f16_e32 v27, v8, v9
	;; [unrolled: 1-line block ×3, first 2 shown]
	v_add_f16_e32 v16, v16, v19
	v_add_f16_e32 v17, v17, v21
	v_sub_f16_e32 v6, v6, v12
	v_sub_f16_e32 v7, v12, v7
	;; [unrolled: 1-line block ×3, first 2 shown]
	v_add_f16_e32 v12, v24, v12
	v_add_f16_e32 v13, v25, v13
	v_mul_f16_e32 v10, 0x3a52, v10
	v_mul_f16_e32 v11, 0x3a52, v11
	;; [unrolled: 1-line block ×7, first 2 shown]
	v_add_f16_e32 v28, v16, v18
	v_add_f16_sdwa v18, v17, v18 dst_sel:DWORD dst_unused:UNUSED_PAD src0_sel:DWORD src1_sel:WORD_1
	v_mul_f16_e32 v26, 0x3b00, v6
	v_fmamk_f16 v14, v14, 0x2b26, v10
	v_fmamk_f16 v15, v15, 0x2b26, v11
	v_fma_f16 v19, v22, 0x39e0, -v19
	v_fma_f16 v21, v23, 0x39e0, -v21
	;; [unrolled: 1-line block ×4, first 2 shown]
	v_fmamk_f16 v22, v7, 0x3574, v24
	v_fmamk_f16 v23, v8, 0x3574, v25
	v_fma_f16 v9, v9, 0x3b00, -v25
	v_fma_f16 v8, v8, 0xb574, -v27
	v_fmamk_f16 v16, v16, 0xbcab, v28
	v_fmamk_f16 v17, v17, 0xbcab, v18
	v_fma_f16 v6, v6, 0x3b00, -v24
	v_fma_f16 v7, v7, 0xb574, -v26
	v_fmac_f16_e32 v22, 0x370e, v12
	v_fmac_f16_e32 v23, 0x370e, v13
	;; [unrolled: 1-line block ×4, first 2 shown]
	v_add_f16_e32 v13, v14, v16
	v_add_f16_e32 v14, v15, v17
	v_fmac_f16_e32 v6, 0x370e, v12
	v_fmac_f16_e32 v7, 0x370e, v12
	v_add_f16_e32 v15, v19, v16
	v_add_f16_e32 v10, v10, v16
	;; [unrolled: 1-line block ×4, first 2 shown]
	v_pack_b32_f16 v12, v28, v18
	v_add_f16_e32 v17, v23, v13
	v_sub_f16_e32 v18, v14, v22
	v_add_f16_e32 v19, v8, v10
	v_sub_f16_e32 v21, v11, v7
	v_sub_f16_e32 v24, v15, v9
	v_add_f16_e32 v25, v6, v16
	v_add_f16_e32 v9, v9, v15
	v_sub_f16_e32 v6, v16, v6
	v_sub_f16_e32 v8, v10, v8
	v_add_f16_e32 v7, v7, v11
	v_sub_f16_e32 v10, v13, v23
	v_add_f16_e32 v11, v22, v14
	v_pack_b32_f16 v13, v17, v18
	v_pack_b32_f16 v14, v19, v21
	;; [unrolled: 1-line block ×6, first 2 shown]
	ds_write2_b32 v20, v12, v13 offset1:16
	ds_write2_b32 v20, v14, v15 offset0:32 offset1:48
	ds_write2_b32 v20, v6, v7 offset0:64 offset1:80
	ds_write_b32 v20, v8 offset:384
	s_waitcnt lgkmcnt(0)
	s_barrier
	buffer_gl0_inv
	s_and_saveexec_b32 s2, vcc_lo
	s_cbranch_execz .LBB0_17
; %bb.16:
	v_mul_lo_u32 v6, s1, v3
	v_mul_lo_u32 v7, s0, v4
	v_mad_u64_u32 v[3:4], null, s0, v3, 0
	v_lshl_add_u32 v15, v5, 2, v0
	v_lshlrev_b64 v[0:1], 2, v[1:2]
	v_add_nc_u32_e32 v9, 32, v5
	ds_read2_b32 v[11:12], v15 offset1:16
	v_add3_u32 v4, v4, v7, v6
	v_mov_b32_e32 v6, 0
	v_add_nc_u32_e32 v7, 16, v5
	v_lshlrev_b64 v[2:3], 2, v[3:4]
	v_mov_b32_e32 v8, v6
	v_lshlrev_b64 v[13:14], 2, v[5:6]
	v_mov_b32_e32 v10, v6
	v_add_co_u32 v2, vcc_lo, s10, v2
	v_add_co_ci_u32_e32 v3, vcc_lo, s11, v3, vcc_lo
	v_add_co_u32 v16, vcc_lo, v2, v0
	v_add_co_ci_u32_e32 v17, vcc_lo, v3, v1, vcc_lo
	v_lshlrev_b64 v[0:1], 2, v[7:8]
	v_add_co_u32 v2, vcc_lo, v16, v13
	v_add_co_ci_u32_e32 v3, vcc_lo, v17, v14, vcc_lo
	ds_read2_b32 v[7:8], v15 offset0:32 offset1:48
	v_add_co_u32 v0, vcc_lo, v16, v0
	v_add_co_ci_u32_e32 v1, vcc_lo, v17, v1, vcc_lo
	s_waitcnt lgkmcnt(1)
	global_store_dword v[2:3], v11, off
	global_store_dword v[0:1], v12, off
	v_add_nc_u32_e32 v2, 48, v5
	v_mov_b32_e32 v3, v6
	v_lshlrev_b64 v[0:1], 2, v[9:10]
	v_add_nc_u32_e32 v9, 64, v5
	ds_read2_b32 v[11:12], v15 offset0:64 offset1:80
	v_add_nc_u32_e32 v13, 0x50, v5
	v_lshlrev_b64 v[2:3], 2, v[2:3]
	v_mov_b32_e32 v14, v6
	ds_read_b32 v15, v15 offset:384
	v_add_co_u32 v0, vcc_lo, v16, v0
	v_lshlrev_b64 v[9:10], 2, v[9:10]
	v_add_nc_u32_e32 v5, 0x60, v5
	v_add_co_ci_u32_e32 v1, vcc_lo, v17, v1, vcc_lo
	v_add_co_u32 v2, vcc_lo, v16, v2
	v_lshlrev_b64 v[13:14], 2, v[13:14]
	v_add_co_ci_u32_e32 v3, vcc_lo, v17, v3, vcc_lo
	v_add_co_u32 v9, vcc_lo, v16, v9
	v_lshlrev_b64 v[4:5], 2, v[5:6]
	v_add_co_ci_u32_e32 v10, vcc_lo, v17, v10, vcc_lo
	v_add_co_u32 v13, vcc_lo, v16, v13
	v_add_co_ci_u32_e32 v14, vcc_lo, v17, v14, vcc_lo
	v_add_co_u32 v4, vcc_lo, v16, v4
	v_add_co_ci_u32_e32 v5, vcc_lo, v17, v5, vcc_lo
	s_waitcnt lgkmcnt(2)
	global_store_dword v[0:1], v7, off
	global_store_dword v[2:3], v8, off
	s_waitcnt lgkmcnt(1)
	global_store_dword v[9:10], v11, off
	global_store_dword v[13:14], v12, off
	s_waitcnt lgkmcnt(0)
	global_store_dword v[4:5], v15, off
.LBB0_17:
	s_endpgm
	.section	.rodata,"a",@progbits
	.p2align	6, 0x0
	.amdhsa_kernel fft_rtc_fwd_len112_factors_16_7_wgs_256_tpt_16_half_op_CI_CI_unitstride_sbrr_dirReg
		.amdhsa_group_segment_fixed_size 0
		.amdhsa_private_segment_fixed_size 0
		.amdhsa_kernarg_size 104
		.amdhsa_user_sgpr_count 6
		.amdhsa_user_sgpr_private_segment_buffer 1
		.amdhsa_user_sgpr_dispatch_ptr 0
		.amdhsa_user_sgpr_queue_ptr 0
		.amdhsa_user_sgpr_kernarg_segment_ptr 1
		.amdhsa_user_sgpr_dispatch_id 0
		.amdhsa_user_sgpr_flat_scratch_init 0
		.amdhsa_user_sgpr_private_segment_size 0
		.amdhsa_wavefront_size32 1
		.amdhsa_uses_dynamic_stack 0
		.amdhsa_system_sgpr_private_segment_wavefront_offset 0
		.amdhsa_system_sgpr_workgroup_id_x 1
		.amdhsa_system_sgpr_workgroup_id_y 0
		.amdhsa_system_sgpr_workgroup_id_z 0
		.amdhsa_system_sgpr_workgroup_info 0
		.amdhsa_system_vgpr_workitem_id 0
		.amdhsa_next_free_vgpr 47
		.amdhsa_next_free_sgpr 27
		.amdhsa_reserve_vcc 1
		.amdhsa_reserve_flat_scratch 0
		.amdhsa_float_round_mode_32 0
		.amdhsa_float_round_mode_16_64 0
		.amdhsa_float_denorm_mode_32 3
		.amdhsa_float_denorm_mode_16_64 3
		.amdhsa_dx10_clamp 1
		.amdhsa_ieee_mode 1
		.amdhsa_fp16_overflow 0
		.amdhsa_workgroup_processor_mode 1
		.amdhsa_memory_ordered 1
		.amdhsa_forward_progress 0
		.amdhsa_shared_vgpr_count 0
		.amdhsa_exception_fp_ieee_invalid_op 0
		.amdhsa_exception_fp_denorm_src 0
		.amdhsa_exception_fp_ieee_div_zero 0
		.amdhsa_exception_fp_ieee_overflow 0
		.amdhsa_exception_fp_ieee_underflow 0
		.amdhsa_exception_fp_ieee_inexact 0
		.amdhsa_exception_int_div_zero 0
	.end_amdhsa_kernel
	.text
.Lfunc_end0:
	.size	fft_rtc_fwd_len112_factors_16_7_wgs_256_tpt_16_half_op_CI_CI_unitstride_sbrr_dirReg, .Lfunc_end0-fft_rtc_fwd_len112_factors_16_7_wgs_256_tpt_16_half_op_CI_CI_unitstride_sbrr_dirReg
                                        ; -- End function
	.section	.AMDGPU.csdata,"",@progbits
; Kernel info:
; codeLenInByte = 3960
; NumSgprs: 29
; NumVgprs: 47
; ScratchSize: 0
; MemoryBound: 0
; FloatMode: 240
; IeeeMode: 1
; LDSByteSize: 0 bytes/workgroup (compile time only)
; SGPRBlocks: 3
; VGPRBlocks: 5
; NumSGPRsForWavesPerEU: 29
; NumVGPRsForWavesPerEU: 47
; Occupancy: 16
; WaveLimiterHint : 1
; COMPUTE_PGM_RSRC2:SCRATCH_EN: 0
; COMPUTE_PGM_RSRC2:USER_SGPR: 6
; COMPUTE_PGM_RSRC2:TRAP_HANDLER: 0
; COMPUTE_PGM_RSRC2:TGID_X_EN: 1
; COMPUTE_PGM_RSRC2:TGID_Y_EN: 0
; COMPUTE_PGM_RSRC2:TGID_Z_EN: 0
; COMPUTE_PGM_RSRC2:TIDIG_COMP_CNT: 0
	.text
	.p2alignl 6, 3214868480
	.fill 48, 4, 3214868480
	.type	__hip_cuid_ac6c213aceb907d3,@object ; @__hip_cuid_ac6c213aceb907d3
	.section	.bss,"aw",@nobits
	.globl	__hip_cuid_ac6c213aceb907d3
__hip_cuid_ac6c213aceb907d3:
	.byte	0                               ; 0x0
	.size	__hip_cuid_ac6c213aceb907d3, 1

	.ident	"AMD clang version 19.0.0git (https://github.com/RadeonOpenCompute/llvm-project roc-6.4.0 25133 c7fe45cf4b819c5991fe208aaa96edf142730f1d)"
	.section	".note.GNU-stack","",@progbits
	.addrsig
	.addrsig_sym __hip_cuid_ac6c213aceb907d3
	.amdgpu_metadata
---
amdhsa.kernels:
  - .args:
      - .actual_access:  read_only
        .address_space:  global
        .offset:         0
        .size:           8
        .value_kind:     global_buffer
      - .offset:         8
        .size:           8
        .value_kind:     by_value
      - .actual_access:  read_only
        .address_space:  global
        .offset:         16
        .size:           8
        .value_kind:     global_buffer
      - .actual_access:  read_only
        .address_space:  global
        .offset:         24
        .size:           8
        .value_kind:     global_buffer
      - .actual_access:  read_only
        .address_space:  global
        .offset:         32
        .size:           8
        .value_kind:     global_buffer
      - .offset:         40
        .size:           8
        .value_kind:     by_value
      - .actual_access:  read_only
        .address_space:  global
        .offset:         48
        .size:           8
        .value_kind:     global_buffer
      - .actual_access:  read_only
        .address_space:  global
        .offset:         56
        .size:           8
        .value_kind:     global_buffer
      - .offset:         64
        .size:           4
        .value_kind:     by_value
      - .actual_access:  read_only
        .address_space:  global
        .offset:         72
        .size:           8
        .value_kind:     global_buffer
      - .actual_access:  read_only
        .address_space:  global
        .offset:         80
        .size:           8
        .value_kind:     global_buffer
      - .actual_access:  read_only
        .address_space:  global
        .offset:         88
        .size:           8
        .value_kind:     global_buffer
      - .actual_access:  write_only
        .address_space:  global
        .offset:         96
        .size:           8
        .value_kind:     global_buffer
    .group_segment_fixed_size: 0
    .kernarg_segment_align: 8
    .kernarg_segment_size: 104
    .language:       OpenCL C
    .language_version:
      - 2
      - 0
    .max_flat_workgroup_size: 256
    .name:           fft_rtc_fwd_len112_factors_16_7_wgs_256_tpt_16_half_op_CI_CI_unitstride_sbrr_dirReg
    .private_segment_fixed_size: 0
    .sgpr_count:     29
    .sgpr_spill_count: 0
    .symbol:         fft_rtc_fwd_len112_factors_16_7_wgs_256_tpt_16_half_op_CI_CI_unitstride_sbrr_dirReg.kd
    .uniform_work_group_size: 1
    .uses_dynamic_stack: false
    .vgpr_count:     47
    .vgpr_spill_count: 0
    .wavefront_size: 32
    .workgroup_processor_mode: 1
amdhsa.target:   amdgcn-amd-amdhsa--gfx1030
amdhsa.version:
  - 1
  - 2
...

	.end_amdgpu_metadata
